;; amdgpu-corpus repo=ROCm/rocFFT kind=compiled arch=gfx1030 opt=O3
	.text
	.amdgcn_target "amdgcn-amd-amdhsa--gfx1030"
	.amdhsa_code_object_version 6
	.protected	fft_rtc_fwd_len1300_factors_10_10_13_wgs_130_tpt_130_dp_op_CI_CI_unitstride_sbrr_R2C_dirReg ; -- Begin function fft_rtc_fwd_len1300_factors_10_10_13_wgs_130_tpt_130_dp_op_CI_CI_unitstride_sbrr_R2C_dirReg
	.globl	fft_rtc_fwd_len1300_factors_10_10_13_wgs_130_tpt_130_dp_op_CI_CI_unitstride_sbrr_R2C_dirReg
	.p2align	8
	.type	fft_rtc_fwd_len1300_factors_10_10_13_wgs_130_tpt_130_dp_op_CI_CI_unitstride_sbrr_R2C_dirReg,@function
fft_rtc_fwd_len1300_factors_10_10_13_wgs_130_tpt_130_dp_op_CI_CI_unitstride_sbrr_R2C_dirReg: ; @fft_rtc_fwd_len1300_factors_10_10_13_wgs_130_tpt_130_dp_op_CI_CI_unitstride_sbrr_R2C_dirReg
; %bb.0:
	s_clause 0x2
	s_load_dwordx4 s[12:15], s[4:5], 0x0
	s_load_dwordx4 s[8:11], s[4:5], 0x58
	;; [unrolled: 1-line block ×3, first 2 shown]
	v_mul_u32_u24_e32 v1, 0x1f9, v0
	v_mov_b32_e32 v3, 0
	v_add_nc_u32_sdwa v5, s6, v1 dst_sel:DWORD dst_unused:UNUSED_PAD src0_sel:DWORD src1_sel:WORD_1
	v_mov_b32_e32 v1, 0
	v_mov_b32_e32 v6, v3
	v_mov_b32_e32 v2, 0
	s_waitcnt lgkmcnt(0)
	v_cmp_lt_u64_e64 s0, s[14:15], 2
	s_and_b32 vcc_lo, exec_lo, s0
	s_cbranch_vccnz .LBB0_8
; %bb.1:
	s_load_dwordx2 s[0:1], s[4:5], 0x10
	v_mov_b32_e32 v1, 0
	v_mov_b32_e32 v2, 0
	s_add_u32 s2, s18, 8
	s_addc_u32 s3, s19, 0
	s_add_u32 s6, s16, 8
	s_addc_u32 s7, s17, 0
	v_mov_b32_e32 v53, v2
	v_mov_b32_e32 v52, v1
	s_mov_b64 s[22:23], 1
	s_waitcnt lgkmcnt(0)
	s_add_u32 s20, s0, 8
	s_addc_u32 s21, s1, 0
.LBB0_2:                                ; =>This Inner Loop Header: Depth=1
	s_load_dwordx2 s[24:25], s[20:21], 0x0
                                        ; implicit-def: $vgpr56_vgpr57
	s_mov_b32 s0, exec_lo
	s_waitcnt lgkmcnt(0)
	v_or_b32_e32 v4, s25, v6
	v_cmpx_ne_u64_e32 0, v[3:4]
	s_xor_b32 s1, exec_lo, s0
	s_cbranch_execz .LBB0_4
; %bb.3:                                ;   in Loop: Header=BB0_2 Depth=1
	v_cvt_f32_u32_e32 v4, s24
	v_cvt_f32_u32_e32 v7, s25
	s_sub_u32 s0, 0, s24
	s_subb_u32 s26, 0, s25
	v_fmac_f32_e32 v4, 0x4f800000, v7
	v_rcp_f32_e32 v4, v4
	v_mul_f32_e32 v4, 0x5f7ffffc, v4
	v_mul_f32_e32 v7, 0x2f800000, v4
	v_trunc_f32_e32 v7, v7
	v_fmac_f32_e32 v4, 0xcf800000, v7
	v_cvt_u32_f32_e32 v7, v7
	v_cvt_u32_f32_e32 v4, v4
	v_mul_lo_u32 v8, s0, v7
	v_mul_hi_u32 v9, s0, v4
	v_mul_lo_u32 v10, s26, v4
	v_add_nc_u32_e32 v8, v9, v8
	v_mul_lo_u32 v9, s0, v4
	v_add_nc_u32_e32 v8, v8, v10
	v_mul_hi_u32 v10, v4, v9
	v_mul_lo_u32 v11, v4, v8
	v_mul_hi_u32 v12, v4, v8
	v_mul_hi_u32 v13, v7, v9
	v_mul_lo_u32 v9, v7, v9
	v_mul_hi_u32 v14, v7, v8
	v_mul_lo_u32 v8, v7, v8
	v_add_co_u32 v10, vcc_lo, v10, v11
	v_add_co_ci_u32_e32 v11, vcc_lo, 0, v12, vcc_lo
	v_add_co_u32 v9, vcc_lo, v10, v9
	v_add_co_ci_u32_e32 v9, vcc_lo, v11, v13, vcc_lo
	v_add_co_ci_u32_e32 v10, vcc_lo, 0, v14, vcc_lo
	v_add_co_u32 v8, vcc_lo, v9, v8
	v_add_co_ci_u32_e32 v9, vcc_lo, 0, v10, vcc_lo
	v_add_co_u32 v4, vcc_lo, v4, v8
	v_add_co_ci_u32_e32 v7, vcc_lo, v7, v9, vcc_lo
	v_mul_hi_u32 v8, s0, v4
	v_mul_lo_u32 v10, s26, v4
	v_mul_lo_u32 v9, s0, v7
	v_add_nc_u32_e32 v8, v8, v9
	v_mul_lo_u32 v9, s0, v4
	v_add_nc_u32_e32 v8, v8, v10
	v_mul_hi_u32 v10, v4, v9
	v_mul_lo_u32 v11, v4, v8
	v_mul_hi_u32 v12, v4, v8
	v_mul_hi_u32 v13, v7, v9
	v_mul_lo_u32 v9, v7, v9
	v_mul_hi_u32 v14, v7, v8
	v_mul_lo_u32 v8, v7, v8
	v_add_co_u32 v10, vcc_lo, v10, v11
	v_add_co_ci_u32_e32 v11, vcc_lo, 0, v12, vcc_lo
	v_add_co_u32 v9, vcc_lo, v10, v9
	v_add_co_ci_u32_e32 v9, vcc_lo, v11, v13, vcc_lo
	v_add_co_ci_u32_e32 v10, vcc_lo, 0, v14, vcc_lo
	v_add_co_u32 v8, vcc_lo, v9, v8
	v_add_co_ci_u32_e32 v9, vcc_lo, 0, v10, vcc_lo
	v_add_co_u32 v4, vcc_lo, v4, v8
	v_add_co_ci_u32_e32 v11, vcc_lo, v7, v9, vcc_lo
	v_mul_hi_u32 v13, v5, v4
	v_mad_u64_u32 v[9:10], null, v6, v4, 0
	v_mad_u64_u32 v[7:8], null, v5, v11, 0
	;; [unrolled: 1-line block ×3, first 2 shown]
	v_add_co_u32 v4, vcc_lo, v13, v7
	v_add_co_ci_u32_e32 v7, vcc_lo, 0, v8, vcc_lo
	v_add_co_u32 v4, vcc_lo, v4, v9
	v_add_co_ci_u32_e32 v4, vcc_lo, v7, v10, vcc_lo
	v_add_co_ci_u32_e32 v7, vcc_lo, 0, v12, vcc_lo
	v_add_co_u32 v4, vcc_lo, v4, v11
	v_add_co_ci_u32_e32 v9, vcc_lo, 0, v7, vcc_lo
	v_mul_lo_u32 v10, s25, v4
	v_mad_u64_u32 v[7:8], null, s24, v4, 0
	v_mul_lo_u32 v11, s24, v9
	v_sub_co_u32 v7, vcc_lo, v5, v7
	v_add3_u32 v8, v8, v11, v10
	v_sub_nc_u32_e32 v10, v6, v8
	v_subrev_co_ci_u32_e64 v10, s0, s25, v10, vcc_lo
	v_add_co_u32 v11, s0, v4, 2
	v_add_co_ci_u32_e64 v12, s0, 0, v9, s0
	v_sub_co_u32 v13, s0, v7, s24
	v_sub_co_ci_u32_e32 v8, vcc_lo, v6, v8, vcc_lo
	v_subrev_co_ci_u32_e64 v10, s0, 0, v10, s0
	v_cmp_le_u32_e32 vcc_lo, s24, v13
	v_cmp_eq_u32_e64 s0, s25, v8
	v_cndmask_b32_e64 v13, 0, -1, vcc_lo
	v_cmp_le_u32_e32 vcc_lo, s25, v10
	v_cndmask_b32_e64 v14, 0, -1, vcc_lo
	v_cmp_le_u32_e32 vcc_lo, s24, v7
	;; [unrolled: 2-line block ×3, first 2 shown]
	v_cndmask_b32_e64 v15, 0, -1, vcc_lo
	v_cmp_eq_u32_e32 vcc_lo, s25, v10
	v_cndmask_b32_e64 v7, v15, v7, s0
	v_cndmask_b32_e32 v10, v14, v13, vcc_lo
	v_add_co_u32 v13, vcc_lo, v4, 1
	v_add_co_ci_u32_e32 v14, vcc_lo, 0, v9, vcc_lo
	v_cmp_ne_u32_e32 vcc_lo, 0, v10
	v_cndmask_b32_e32 v8, v14, v12, vcc_lo
	v_cndmask_b32_e32 v10, v13, v11, vcc_lo
	v_cmp_ne_u32_e32 vcc_lo, 0, v7
	v_cndmask_b32_e32 v57, v9, v8, vcc_lo
	v_cndmask_b32_e32 v56, v4, v10, vcc_lo
.LBB0_4:                                ;   in Loop: Header=BB0_2 Depth=1
	s_andn2_saveexec_b32 s0, s1
	s_cbranch_execz .LBB0_6
; %bb.5:                                ;   in Loop: Header=BB0_2 Depth=1
	v_cvt_f32_u32_e32 v4, s24
	s_sub_i32 s1, 0, s24
	v_mov_b32_e32 v57, v3
	v_rcp_iflag_f32_e32 v4, v4
	v_mul_f32_e32 v4, 0x4f7ffffe, v4
	v_cvt_u32_f32_e32 v4, v4
	v_mul_lo_u32 v7, s1, v4
	v_mul_hi_u32 v7, v4, v7
	v_add_nc_u32_e32 v4, v4, v7
	v_mul_hi_u32 v4, v5, v4
	v_mul_lo_u32 v7, v4, s24
	v_add_nc_u32_e32 v8, 1, v4
	v_sub_nc_u32_e32 v7, v5, v7
	v_subrev_nc_u32_e32 v9, s24, v7
	v_cmp_le_u32_e32 vcc_lo, s24, v7
	v_cndmask_b32_e32 v7, v7, v9, vcc_lo
	v_cndmask_b32_e32 v4, v4, v8, vcc_lo
	v_cmp_le_u32_e32 vcc_lo, s24, v7
	v_add_nc_u32_e32 v8, 1, v4
	v_cndmask_b32_e32 v56, v4, v8, vcc_lo
.LBB0_6:                                ;   in Loop: Header=BB0_2 Depth=1
	s_or_b32 exec_lo, exec_lo, s0
	v_mul_lo_u32 v4, v57, s24
	v_mul_lo_u32 v9, v56, s25
	s_load_dwordx2 s[0:1], s[6:7], 0x0
	v_mad_u64_u32 v[7:8], null, v56, s24, 0
	s_load_dwordx2 s[24:25], s[2:3], 0x0
	s_add_u32 s22, s22, 1
	s_addc_u32 s23, s23, 0
	s_add_u32 s2, s2, 8
	s_addc_u32 s3, s3, 0
	s_add_u32 s6, s6, 8
	v_add3_u32 v4, v8, v9, v4
	v_sub_co_u32 v5, vcc_lo, v5, v7
	s_addc_u32 s7, s7, 0
	s_add_u32 s20, s20, 8
	v_sub_co_ci_u32_e32 v4, vcc_lo, v6, v4, vcc_lo
	s_addc_u32 s21, s21, 0
	s_waitcnt lgkmcnt(0)
	v_mul_lo_u32 v6, s0, v4
	v_mul_lo_u32 v7, s1, v5
	v_mad_u64_u32 v[1:2], null, s0, v5, v[1:2]
	v_mul_lo_u32 v4, s24, v4
	v_mul_lo_u32 v8, s25, v5
	v_mad_u64_u32 v[52:53], null, s24, v5, v[52:53]
	v_cmp_ge_u64_e64 s0, s[22:23], s[14:15]
	v_add3_u32 v2, v7, v2, v6
	v_add3_u32 v53, v8, v53, v4
	s_and_b32 vcc_lo, exec_lo, s0
	s_cbranch_vccnz .LBB0_9
; %bb.7:                                ;   in Loop: Header=BB0_2 Depth=1
	v_mov_b32_e32 v5, v56
	v_mov_b32_e32 v6, v57
	s_branch .LBB0_2
.LBB0_8:
	v_mov_b32_e32 v53, v2
	v_mov_b32_e32 v57, v6
	;; [unrolled: 1-line block ×4, first 2 shown]
.LBB0_9:
	s_load_dwordx2 s[0:1], s[4:5], 0x28
	v_mul_hi_u32 v3, 0x1f81f82, v0
	s_lshl_b64 s[4:5], s[14:15], 3
                                        ; implicit-def: $vgpr54
	s_add_u32 s2, s18, s4
	s_addc_u32 s3, s19, s5
	s_waitcnt lgkmcnt(0)
	v_cmp_gt_u64_e32 vcc_lo, s[0:1], v[56:57]
	v_cmp_le_u64_e64 s0, s[0:1], v[56:57]
	s_and_saveexec_b32 s1, s0
	s_xor_b32 s0, exec_lo, s1
; %bb.10:
	v_mul_u32_u24_e32 v1, 0x82, v3
                                        ; implicit-def: $vgpr3
	v_sub_nc_u32_e32 v54, v0, v1
                                        ; implicit-def: $vgpr0
                                        ; implicit-def: $vgpr1_vgpr2
; %bb.11:
	s_andn2_saveexec_b32 s1, s0
	s_cbranch_execz .LBB0_13
; %bb.12:
	s_add_u32 s4, s16, s4
	s_addc_u32 s5, s17, s5
	v_lshlrev_b64 v[1:2], 4, v[1:2]
	s_load_dwordx2 s[4:5], s[4:5], 0x0
	s_waitcnt lgkmcnt(0)
	v_mul_lo_u32 v6, s5, v56
	v_mul_lo_u32 v7, s4, v57
	v_mad_u64_u32 v[4:5], null, s4, v56, 0
	v_add3_u32 v5, v5, v7, v6
	v_mul_u32_u24_e32 v6, 0x82, v3
	v_lshlrev_b64 v[3:4], 4, v[4:5]
	v_sub_nc_u32_e32 v54, v0, v6
	v_lshlrev_b32_e32 v40, 4, v54
	v_add_co_u32 v0, s0, s8, v3
	v_add_co_ci_u32_e64 v3, s0, s9, v4, s0
	v_add_co_u32 v0, s0, v0, v1
	v_add_co_ci_u32_e64 v1, s0, v3, v2, s0
	;; [unrolled: 2-line block ×3, first 2 shown]
	v_add_nc_u32_e32 v40, 0, v40
	v_add_co_u32 v4, s0, 0x800, v0
	v_add_co_ci_u32_e64 v5, s0, 0, v1, s0
	v_add_co_u32 v8, s0, 0x1000, v0
	v_add_co_ci_u32_e64 v9, s0, 0, v1, s0
	;; [unrolled: 2-line block ×9, first 2 shown]
	s_clause 0x9
	global_load_dwordx4 v[0:3], v[0:1], off
	global_load_dwordx4 v[4:7], v[4:5], off offset:32
	global_load_dwordx4 v[8:11], v[8:9], off offset:64
	;; [unrolled: 1-line block ×9, first 2 shown]
	s_waitcnt vmcnt(9)
	ds_write_b128 v40, v[0:3]
	s_waitcnt vmcnt(8)
	ds_write_b128 v40, v[4:7] offset:2080
	s_waitcnt vmcnt(7)
	ds_write_b128 v40, v[8:11] offset:4160
	;; [unrolled: 2-line block ×9, first 2 shown]
.LBB0_13:
	s_or_b32 exec_lo, exec_lo, s1
	v_lshl_add_u32 v144, v54, 4, 0
	s_load_dwordx2 s[2:3], s[2:3], 0x0
	s_waitcnt lgkmcnt(0)
	s_barrier
	buffer_gl0_inv
	ds_read_b128 v[24:27], v144 offset:6240
	ds_read_b128 v[16:19], v144 offset:10400
	;; [unrolled: 1-line block ×8, first 2 shown]
	ds_read_b128 v[28:31], v144
	ds_read_b128 v[36:39], v144 offset:2080
	s_mov_b32 s4, 0x134454ff
	s_mov_b32 s5, 0x3fee6f0e
	;; [unrolled: 1-line block ×11, first 2 shown]
	s_waitcnt lgkmcnt(8)
	v_add_f64 v[84:85], v[24:25], -v[16:17]
	s_waitcnt lgkmcnt(7)
	v_add_f64 v[40:41], v[16:17], v[8:9]
	s_waitcnt lgkmcnt(6)
	v_add_f64 v[42:43], v[24:25], v[0:1]
	v_add_f64 v[44:45], v[26:27], v[2:3]
	;; [unrolled: 1-line block ×3, first 2 shown]
	v_add_f64 v[64:65], v[26:27], -v[2:3]
	v_add_f64 v[60:61], v[18:19], -v[10:11]
	;; [unrolled: 1-line block ×4, first 2 shown]
	s_waitcnt lgkmcnt(4)
	v_add_f64 v[48:49], v[20:21], v[12:13]
	s_waitcnt lgkmcnt(2)
	v_add_f64 v[50:51], v[32:33], v[4:5]
	v_add_f64 v[58:59], v[22:23], v[14:15]
	v_add_f64 v[86:87], v[16:17], -v[24:25]
	v_add_f64 v[88:89], v[18:19], -v[26:27]
	;; [unrolled: 1-line block ×5, first 2 shown]
	v_add_f64 v[66:67], v[34:35], v[6:7]
	v_add_f64 v[106:107], v[26:27], -v[18:19]
	v_add_f64 v[108:109], v[2:3], -v[10:11]
	s_waitcnt lgkmcnt(1)
	v_add_f64 v[68:69], v[28:29], v[32:33]
	v_add_f64 v[70:71], v[30:31], v[34:35]
	s_waitcnt lgkmcnt(0)
	v_add_f64 v[24:25], v[36:37], v[24:25]
	v_fma_f64 v[40:41], v[40:41], -0.5, v[36:37]
	v_fma_f64 v[42:43], v[42:43], -0.5, v[36:37]
	;; [unrolled: 1-line block ×4, first 2 shown]
	v_add_f64 v[26:27], v[38:39], v[26:27]
	v_add_f64 v[72:73], v[34:35], -v[6:7]
	v_add_f64 v[74:75], v[32:33], -v[20:21]
	;; [unrolled: 1-line block ×5, first 2 shown]
	v_fma_f64 v[48:49], v[48:49], -0.5, v[28:29]
	v_fma_f64 v[28:29], v[50:51], -0.5, v[28:29]
	;; [unrolled: 1-line block ×3, first 2 shown]
	v_add_f64 v[58:59], v[84:85], v[90:91]
	v_add_f64 v[84:85], v[86:87], v[92:93]
	;; [unrolled: 1-line block ×3, first 2 shown]
	v_add_f64 v[96:97], v[20:21], -v[12:13]
	v_add_f64 v[104:105], v[4:5], -v[12:13]
	;; [unrolled: 1-line block ×3, first 2 shown]
	v_fma_f64 v[30:31], v[66:67], -0.5, v[30:31]
	v_add_f64 v[66:67], v[106:107], v[108:109]
	v_add_f64 v[80:81], v[34:35], -v[22:23]
	v_fma_f64 v[98:99], v[64:65], s[4:5], v[40:41]
	v_fma_f64 v[102:103], v[60:61], s[4:5], v[42:43]
	;; [unrolled: 1-line block ×8, first 2 shown]
	v_add_f64 v[34:35], v[22:23], -v[34:35]
	v_add_f64 v[20:21], v[68:69], v[20:21]
	v_add_f64 v[22:23], v[70:71], v[22:23]
	;; [unrolled: 1-line block ×4, first 2 shown]
	v_add_f64 v[36:37], v[6:7], -v[14:15]
	v_fma_f64 v[68:69], v[82:83], s[0:1], v[28:29]
	v_fma_f64 v[28:29], v[82:83], s[4:5], v[28:29]
	;; [unrolled: 1-line block ×3, first 2 shown]
	v_add_f64 v[38:39], v[14:15], -v[6:7]
	v_add_f64 v[24:25], v[74:75], v[104:105]
	v_add_f64 v[26:27], v[78:79], v[112:113]
	v_fma_f64 v[50:51], v[32:33], s[4:5], v[50:51]
	v_fma_f64 v[78:79], v[96:97], s[4:5], v[30:31]
	;; [unrolled: 1-line block ×13, first 2 shown]
	s_mov_b32 s17, 0x3fe9e377
	v_add_f64 v[12:13], v[20:21], v[12:13]
	v_add_f64 v[14:15], v[22:23], v[14:15]
	;; [unrolled: 1-line block ×5, first 2 shown]
	v_fma_f64 v[20:21], v[72:73], s[8:9], v[68:69]
	v_fma_f64 v[22:23], v[72:73], s[6:7], v[28:29]
	;; [unrolled: 1-line block ×3, first 2 shown]
	v_add_f64 v[34:35], v[34:35], v[38:39]
	v_fma_f64 v[38:39], v[96:97], s[8:9], v[50:51]
	v_fma_f64 v[62:63], v[58:59], s[14:15], v[88:89]
	;; [unrolled: 1-line block ×13, first 2 shown]
	v_add_f64 v[4:5], v[12:13], v[4:5]
	v_add_f64 v[6:7], v[14:15], v[6:7]
	;; [unrolled: 1-line block ×4, first 2 shown]
	v_and_b32_e32 v55, 0xff, v54
	v_fma_f64 v[78:79], v[26:27], s[14:15], v[20:21]
	v_fma_f64 v[80:81], v[26:27], s[14:15], v[22:23]
	;; [unrolled: 1-line block ×4, first 2 shown]
	v_mul_f64 v[48:49], v[62:63], s[16:17]
	v_mul_f64 v[62:63], v[62:63], s[6:7]
	;; [unrolled: 1-line block ×8, first 2 shown]
	v_fma_f64 v[16:17], v[24:25], s[14:15], v[16:17]
	v_fma_f64 v[72:73], v[24:25], s[14:15], v[18:19]
	v_mul_lo_u16 v55, 0xcd, v55
	s_barrier
	buffer_gl0_inv
	v_add_f64 v[0:1], v[4:5], v[12:13]
	v_lshrrev_b16 v8, 11, v55
	v_add_f64 v[2:3], v[6:7], v[9:10]
	v_add_f64 v[4:5], v[4:5], -v[12:13]
	v_add_f64 v[6:7], v[6:7], -v[9:10]
	v_mov_b32_e32 v55, 0x640
	v_fma_f64 v[22:23], v[46:47], s[8:9], v[48:49]
	v_fma_f64 v[24:25], v[46:47], s[16:17], v[62:63]
	;; [unrolled: 1-line block ×5, first 2 shown]
	v_fma_f64 v[38:39], v[44:45], s[4:5], -v[60:61]
	v_fma_f64 v[44:45], v[34:35], s[14:15], v[30:31]
	v_fma_f64 v[48:49], v[76:77], s[0:1], -v[68:69]
	v_fma_f64 v[32:33], v[58:59], s[8:9], -v[32:33]
	;; [unrolled: 1-line block ×3, first 2 shown]
	v_mul_lo_u16 v50, v8, 10
	v_mul_u32_u24_sdwa v8, v8, v55 dst_sel:DWORD dst_unused:UNUSED_PAD src0_sel:WORD_0 src1_sel:DWORD
	v_sub_nc_u16 v9, v54, v50
	v_add_f64 v[10:11], v[16:17], v[22:23]
	v_add_f64 v[12:13], v[20:21], v[24:25]
	;; [unrolled: 1-line block ×3, first 2 shown]
	v_add_f64 v[22:23], v[16:17], -v[22:23]
	v_add_f64 v[16:17], v[42:43], v[46:47]
	v_add_f64 v[18:19], v[80:81], v[38:39]
	v_add_f64 v[24:25], v[20:21], -v[24:25]
	v_add_f64 v[20:21], v[44:45], v[48:49]
	v_add_f64 v[26:27], v[72:73], v[32:33]
	;; [unrolled: 1-line block ×3, first 2 shown]
	v_add_f64 v[30:31], v[78:79], -v[36:37]
	v_add_f64 v[34:35], v[80:81], -v[38:39]
	;; [unrolled: 1-line block ×4, first 2 shown]
	v_mov_b32_e32 v42, 9
	v_add_f64 v[36:37], v[44:45], -v[48:49]
	v_add_f64 v[40:41], v[82:83], -v[40:41]
	v_mad_u32_u24 v43, 0x90, v54, v144
	ds_write_b128 v43, v[0:3]
	ds_write_b128 v43, v[4:7] offset:80
	ds_write_b128 v43, v[10:13] offset:16
	ds_write_b128 v43, v[14:17] offset:32
	ds_write_b128 v43, v[18:21] offset:48
	ds_write_b128 v43, v[26:29] offset:64
	ds_write_b128 v43, v[22:25] offset:96
	ds_write_b128 v43, v[30:33] offset:112
	ds_write_b128 v43, v[34:37] offset:128
	ds_write_b128 v43, v[38:41] offset:144
	v_mul_u32_u24_sdwa v42, v9, v42 dst_sel:DWORD dst_unused:UNUSED_PAD src0_sel:BYTE_0 src1_sel:DWORD
	s_waitcnt lgkmcnt(0)
	s_barrier
	buffer_gl0_inv
	v_lshlrev_b32_e32 v42, 4, v42
	s_clause 0x8
	global_load_dwordx4 v[0:3], v42, s[12:13] offset:32
	global_load_dwordx4 v[4:7], v42, s[12:13] offset:64
	;; [unrolled: 1-line block ×4, first 2 shown]
	global_load_dwordx4 v[18:21], v42, s[12:13]
	global_load_dwordx4 v[22:25], v42, s[12:13] offset:16
	global_load_dwordx4 v[26:29], v42, s[12:13] offset:48
	;; [unrolled: 1-line block ×4, first 2 shown]
	ds_read_b128 v[38:41], v144 offset:6240
	ds_read_b128 v[42:45], v144 offset:10400
	;; [unrolled: 1-line block ×9, first 2 shown]
	ds_read_b128 v[82:85], v144
	s_waitcnt vmcnt(0) lgkmcnt(0)
	s_barrier
	buffer_gl0_inv
	v_mul_f64 v[50:51], v[40:41], v[2:3]
	v_mul_f64 v[2:3], v[38:39], v[2:3]
	;; [unrolled: 1-line block ×16, first 2 shown]
	v_fma_f64 v[38:39], v[38:39], v[0:1], -v[50:51]
	v_fma_f64 v[0:1], v[40:41], v[0:1], v[2:3]
	v_fma_f64 v[2:3], v[42:43], v[4:5], -v[86:87]
	v_fma_f64 v[4:5], v[44:45], v[4:5], v[6:7]
	v_fma_f64 v[6:7], v[48:49], v[10:11], v[88:89]
	;; [unrolled: 1-line block ×3, first 2 shown]
	v_fma_f64 v[14:15], v[58:59], v[14:15], -v[16:17]
	v_fma_f64 v[10:11], v[46:47], v[10:11], -v[12:13]
	v_mul_f64 v[12:13], v[74:75], v[32:33]
	v_mul_f64 v[16:17], v[78:79], v[36:37]
	v_fma_f64 v[32:33], v[66:67], v[22:23], -v[94:95]
	v_fma_f64 v[46:47], v[62:63], v[18:19], -v[92:93]
	v_fma_f64 v[36:37], v[70:71], v[26:27], -v[96:97]
	v_fma_f64 v[18:19], v[64:65], v[18:19], v[20:21]
	v_fma_f64 v[20:21], v[68:69], v[22:23], v[24:25]
	;; [unrolled: 1-line block ×3, first 2 shown]
	v_fma_f64 v[42:43], v[74:75], v[30:31], -v[98:99]
	v_fma_f64 v[44:45], v[78:79], v[34:35], -v[100:101]
	v_add_f64 v[88:89], v[38:39], -v[2:3]
	v_add_f64 v[92:93], v[2:3], -v[38:39]
	v_add_f64 v[24:25], v[4:5], v[6:7]
	v_add_f64 v[26:27], v[0:1], v[40:41]
	;; [unrolled: 1-line block ×4, first 2 shown]
	v_fma_f64 v[12:13], v[76:77], v[30:31], v[12:13]
	v_fma_f64 v[16:17], v[80:81], v[34:35], v[16:17]
	v_add_f64 v[50:51], v[2:3], -v[10:11]
	v_add_f64 v[58:59], v[4:5], -v[6:7]
	;; [unrolled: 1-line block ×6, first 2 shown]
	v_add_f64 v[30:31], v[36:37], v[42:43]
	v_add_f64 v[34:35], v[32:33], v[44:45]
	v_add_f64 v[96:97], v[0:1], -v[4:5]
	v_add_f64 v[98:99], v[40:41], -v[6:7]
	;; [unrolled: 1-line block ×6, first 2 shown]
	v_add_f64 v[72:73], v[82:83], v[32:33]
	v_add_f64 v[74:75], v[84:85], v[20:21]
	v_fma_f64 v[24:25], v[24:25], -0.5, v[18:19]
	v_fma_f64 v[26:27], v[26:27], -0.5, v[18:19]
	;; [unrolled: 1-line block ×4, first 2 shown]
	v_add_f64 v[64:65], v[22:23], v[12:13]
	v_add_f64 v[66:67], v[20:21], v[16:17]
	v_add_f64 v[76:77], v[36:37], -v[32:33]
	v_add_f64 v[80:81], v[20:21], -v[22:23]
	;; [unrolled: 1-line block ×5, first 2 shown]
	v_add_f64 v[38:39], v[46:47], v[38:39]
	v_add_f64 v[0:1], v[18:19], v[0:1]
	v_add_f64 v[18:19], v[32:33], -v[44:45]
	v_add_f64 v[20:21], v[20:21], -v[16:17]
	v_fma_f64 v[30:31], v[30:31], -0.5, v[82:83]
	v_fma_f64 v[32:33], v[34:35], -0.5, v[82:83]
	v_add_f64 v[46:47], v[88:89], v[90:91]
	v_add_f64 v[82:83], v[96:97], v[98:99]
	;; [unrolled: 1-line block ×3, first 2 shown]
	v_add_f64 v[78:79], v[42:43], -v[44:45]
	v_add_f64 v[86:87], v[16:17], -v[12:13]
	v_fma_f64 v[104:105], v[60:61], s[0:1], v[24:25]
	v_fma_f64 v[106:107], v[50:51], s[4:5], v[26:27]
	;; [unrolled: 1-line block ×8, first 2 shown]
	v_fma_f64 v[34:35], v[64:65], -0.5, v[84:85]
	v_add_f64 v[64:65], v[92:93], v[94:95]
	v_fma_f64 v[66:67], v[66:67], -0.5, v[84:85]
	v_add_f64 v[84:85], v[12:13], -v[16:17]
	v_add_f64 v[36:37], v[72:73], v[36:37]
	v_add_f64 v[22:23], v[74:75], v[22:23]
	;; [unrolled: 1-line block ×4, first 2 shown]
	v_fma_f64 v[4:5], v[20:21], s[4:5], v[30:31]
	v_fma_f64 v[30:31], v[20:21], s[0:1], v[30:31]
	;; [unrolled: 1-line block ×12, first 2 shown]
	v_add_f64 v[50:51], v[68:69], v[70:71]
	v_fma_f64 v[60:61], v[18:19], s[0:1], v[34:35]
	v_fma_f64 v[34:35], v[18:19], s[4:5], v[34:35]
	v_fma_f64 v[74:75], v[114:115], s[4:5], v[66:67]
	v_fma_f64 v[66:67], v[114:115], s[0:1], v[66:67]
	v_add_f64 v[58:59], v[76:77], v[78:79]
	v_add_f64 v[36:37], v[36:37], v[42:43]
	;; [unrolled: 1-line block ×5, first 2 shown]
	v_fma_f64 v[4:5], v[116:117], s[8:9], v[4:5]
	v_fma_f64 v[6:7], v[116:117], s[6:7], v[30:31]
	;; [unrolled: 1-line block ×12, first 2 shown]
	v_add_f64 v[48:49], v[80:81], v[86:87]
	v_add_f64 v[64:65], v[112:113], v[84:85]
	v_fma_f64 v[22:23], v[114:115], s[6:7], v[60:61]
	v_fma_f64 v[30:31], v[114:115], s[8:9], v[34:35]
	;; [unrolled: 1-line block ×4, first 2 shown]
	v_add_f64 v[36:37], v[36:37], v[44:45]
	v_add_f64 v[12:13], v[12:13], v[16:17]
	;; [unrolled: 1-line block ×4, first 2 shown]
	v_fma_f64 v[40:41], v[50:51], s[14:15], v[4:5]
	v_fma_f64 v[50:51], v[50:51], s[14:15], v[6:7]
	;; [unrolled: 1-line block ×4, first 2 shown]
	v_mul_f64 v[32:33], v[62:63], s[8:9]
	v_mul_f64 v[34:35], v[68:69], s[4:5]
	;; [unrolled: 1-line block ×8, first 2 shown]
	v_fma_f64 v[6:7], v[48:49], s[14:15], v[22:23]
	v_fma_f64 v[22:23], v[48:49], s[14:15], v[30:31]
	v_add_f64 v[0:1], v[36:37], v[14:15]
	v_add_f64 v[2:3], v[12:13], v[16:17]
	v_add_f64 v[36:37], v[36:37], -v[14:15]
	v_fma_f64 v[30:31], v[72:73], s[16:17], v[32:33]
	v_fma_f64 v[28:29], v[28:29], s[14:15], v[34:35]
	v_fma_f64 v[32:33], v[26:27], s[4:5], -v[38:39]
	v_fma_f64 v[26:27], v[62:63], s[16:17], v[42:43]
	v_fma_f64 v[34:35], v[64:65], s[14:15], v[60:61]
	;; [unrolled: 1-line block ×3, first 2 shown]
	v_fma_f64 v[58:59], v[24:25], s[8:9], -v[66:67]
	v_fma_f64 v[60:61], v[68:69], s[14:15], v[74:75]
	v_fma_f64 v[62:63], v[70:71], s[0:1], -v[76:77]
	v_fma_f64 v[64:65], v[46:47], s[6:7], -v[78:79]
	v_add_f64 v[38:39], v[12:13], -v[16:17]
	v_mov_b32_e32 v66, 4
	v_cmp_gt_u32_e64 s0, 0x64, v54
	v_lshlrev_b32_sdwa v9, v66, v9 dst_sel:DWORD dst_unused:UNUSED_PAD src0_sel:DWORD src1_sel:BYTE_0
	v_add3_u32 v8, 0, v8, v9
	v_add_f64 v[16:17], v[40:41], v[30:31]
	v_add_f64 v[4:5], v[10:11], v[28:29]
	;; [unrolled: 1-line block ×4, first 2 shown]
	v_add_f64 v[44:45], v[40:41], -v[30:31]
	v_add_f64 v[46:47], v[6:7], -v[26:27]
	v_add_f64 v[24:25], v[50:51], v[58:59]
	v_add_f64 v[6:7], v[34:35], v[60:61]
	;; [unrolled: 1-line block ×4, first 2 shown]
	v_add_f64 v[48:49], v[10:11], -v[28:29]
	v_add_f64 v[40:41], v[20:21], -v[32:33]
	;; [unrolled: 1-line block ×6, first 2 shown]
	ds_write_b128 v8, v[0:3]
	ds_write_b128 v8, v[36:39] offset:800
	ds_write_b128 v8, v[16:19] offset:160
	;; [unrolled: 1-line block ×9, first 2 shown]
	s_waitcnt lgkmcnt(0)
	s_barrier
	buffer_gl0_inv
                                        ; implicit-def: $vgpr34_vgpr35
                                        ; implicit-def: $vgpr10_vgpr11
                                        ; implicit-def: $vgpr30_vgpr31
	s_and_saveexec_b32 s1, s0
	s_cbranch_execz .LBB0_15
; %bb.14:
	ds_read_b128 v[0:3], v144
	ds_read_b128 v[16:19], v144 offset:1600
	ds_read_b128 v[4:7], v144 offset:3200
	;; [unrolled: 1-line block ×12, first 2 shown]
.LBB0_15:
	s_or_b32 exec_lo, exec_lo, s1
	s_waitcnt lgkmcnt(0)
	s_barrier
	buffer_gl0_inv
	s_and_saveexec_b32 s33, s0
	s_cbranch_execz .LBB0_17
; %bb.16:
	v_add_nc_u32_e32 v55, 0xffffff9c, v54
	v_mov_b32_e32 v59, 0
	s_mov_b32 s8, 0xebaa3ed8
	s_mov_b32 s20, 0x1ea71119
	;; [unrolled: 1-line block ×3, first 2 shown]
	v_cndmask_b32_e64 v55, v55, v54, s0
	s_mov_b32 s28, 0xe00740e9
	s_mov_b32 s6, 0x93053d00
	;; [unrolled: 1-line block ×4, first 2 shown]
	v_mul_i32_i24_e32 v58, 12, v55
	s_mov_b32 s5, 0xbfe7f3cc
	s_mov_b32 s29, 0x3fec55a7
	;; [unrolled: 1-line block ×4, first 2 shown]
	v_lshlrev_b64 v[58:59], 4, v[58:59]
	s_mov_b32 s14, 0x2ef20147
	s_mov_b32 s36, 0x42a4c3d2
	s_mov_b32 s16, 0x24c2f84
	s_mov_b32 s30, 0x4267c47c
	s_mov_b32 s18, 0x4bc48dbf
	v_add_co_u32 v78, s0, s12, v58
	v_add_co_ci_u32_e64 v79, s0, s13, v59, s0
	s_mov_b32 s0, 0xb2365da1
	s_mov_b32 s1, 0xbfd6b1d8
	s_mov_b32 s27, 0xbfefc445
	s_clause 0x1
	global_load_dwordx4 v[60:63], v[78:79], off offset:1520
	global_load_dwordx4 v[64:67], v[78:79], off offset:1504
	s_mov_b32 s15, 0x3fedeba7
	s_mov_b32 s37, 0xbfea55e2
	;; [unrolled: 1-line block ×17, first 2 shown]
	s_waitcnt vmcnt(1)
	v_mul_f64 v[58:59], v[44:45], v[62:63]
	v_fma_f64 v[58:59], v[46:47], v[60:61], v[58:59]
	v_mul_f64 v[46:47], v[46:47], v[62:63]
	v_fma_f64 v[44:45], v[44:45], v[60:61], -v[46:47]
	s_clause 0x1
	global_load_dwordx4 v[60:63], v[78:79], off offset:1536
	global_load_dwordx4 v[68:71], v[78:79], off offset:1552
	s_waitcnt vmcnt(1)
	v_mul_f64 v[46:47], v[48:49], v[62:63]
	v_fma_f64 v[46:47], v[50:51], v[60:61], v[46:47]
	v_mul_f64 v[50:51], v[50:51], v[62:63]
	v_add_f64 v[134:135], v[58:59], v[46:47]
	v_fma_f64 v[48:49], v[48:49], v[60:61], -v[50:51]
	v_mul_f64 v[50:51], v[36:37], v[66:67]
	v_add_f64 v[136:137], v[58:59], -v[46:47]
	v_mul_f64 v[161:162], v[134:135], s[8:9]
	v_fma_f64 v[50:51], v[38:39], v[64:65], v[50:51]
	v_mul_f64 v[38:39], v[38:39], v[66:67]
	v_mul_f64 v[163:164], v[136:137], s[22:23]
	v_fma_f64 v[36:37], v[36:37], v[64:65], -v[38:39]
	s_waitcnt vmcnt(0)
	v_mul_f64 v[38:39], v[40:41], v[70:71]
	v_fma_f64 v[38:39], v[42:43], v[68:69], v[38:39]
	v_mul_f64 v[42:43], v[42:43], v[70:71]
	s_clause 0x1
	global_load_dwordx4 v[60:63], v[78:79], off offset:1488
	global_load_dwordx4 v[70:73], v[78:79], off offset:1472
	v_add_f64 v[130:131], v[50:51], v[38:39]
	v_fma_f64 v[40:41], v[40:41], v[68:69], -v[42:43]
	v_add_f64 v[132:133], v[50:51], -v[38:39]
	v_mul_f64 v[155:156], v[130:131], s[0:1]
	v_mul_f64 v[157:158], v[132:133], s[38:39]
	s_waitcnt vmcnt(1)
	v_mul_f64 v[42:43], v[24:25], v[62:63]
	v_fma_f64 v[42:43], v[26:27], v[60:61], v[42:43]
	v_mul_f64 v[26:27], v[26:27], v[62:63]
	v_fma_f64 v[60:61], v[24:25], v[60:61], -v[26:27]
	s_clause 0x1
	global_load_dwordx4 v[62:65], v[78:79], off offset:1440
	global_load_dwordx4 v[24:27], v[78:79], off offset:1456
	s_waitcnt vmcnt(1)
	v_mul_f64 v[66:67], v[16:17], v[64:65]
	v_fma_f64 v[66:67], v[18:19], v[62:63], v[66:67]
	v_mul_f64 v[18:19], v[18:19], v[64:65]
	v_fma_f64 v[68:69], v[16:17], v[62:63], -v[18:19]
	s_clause 0x1
	global_load_dwordx4 v[62:65], v[78:79], off offset:1616
	global_load_dwordx4 v[74:77], v[78:79], off offset:1600
	s_waitcnt vmcnt(1)
	v_mul_f64 v[16:17], v[32:33], v[64:65]
	v_mul_f64 v[18:19], v[34:35], v[64:65]
	v_fma_f64 v[16:17], v[34:35], v[62:63], v[16:17]
	v_fma_f64 v[18:19], v[32:33], v[62:63], -v[18:19]
	s_clause 0x1
	global_load_dwordx4 v[62:65], v[78:79], off offset:1568
	global_load_dwordx4 v[78:81], v[78:79], off offset:1584
	v_add_f64 v[90:91], v[68:69], v[18:19]
	s_waitcnt vmcnt(1)
	v_mul_f64 v[32:33], v[20:21], v[64:65]
	v_fma_f64 v[32:33], v[22:23], v[62:63], v[32:33]
	v_mul_f64 v[22:23], v[22:23], v[64:65]
	v_add_f64 v[126:127], v[42:43], v[32:33]
	v_fma_f64 v[20:21], v[20:21], v[62:63], -v[22:23]
	v_mul_f64 v[22:23], v[12:13], v[72:73]
	v_add_f64 v[128:129], v[42:43], -v[32:33]
	v_fma_f64 v[22:23], v[14:15], v[70:71], v[22:23]
	v_mul_f64 v[14:15], v[14:15], v[72:73]
	v_mul_f64 v[153:154], v[128:129], s[24:25]
	v_fma_f64 v[34:35], v[12:13], v[70:71], -v[14:15]
	s_waitcnt vmcnt(0)
	v_mul_f64 v[12:13], v[28:29], v[80:81]
	v_add_f64 v[70:71], v[68:69], -v[18:19]
	v_fma_f64 v[62:63], v[30:31], v[78:79], v[12:13]
	v_mul_f64 v[12:13], v[30:31], v[80:81]
	v_add_f64 v[122:123], v[22:23], v[62:63]
	v_fma_f64 v[28:29], v[28:29], v[78:79], -v[12:13]
	v_mul_f64 v[12:13], v[4:5], v[26:27]
	v_add_f64 v[124:125], v[22:23], -v[62:63]
	v_fma_f64 v[30:31], v[6:7], v[24:25], v[12:13]
	v_mul_f64 v[6:7], v[6:7], v[26:27]
	v_fma_f64 v[64:65], v[4:5], v[24:25], -v[6:7]
	v_mul_f64 v[4:5], v[8:9], v[76:77]
	v_fma_f64 v[24:25], v[10:11], v[74:75], v[4:5]
	v_mul_f64 v[4:5], v[10:11], v[76:77]
	v_fma_f64 v[26:27], v[8:9], v[74:75], -v[4:5]
	v_add_f64 v[4:5], v[66:67], v[16:17]
	v_mul_f64 v[6:7], v[4:5], s[6:7]
	v_mul_f64 v[8:9], v[4:5], s[4:5]
	;; [unrolled: 1-line block ×6, first 2 shown]
	v_fma_f64 v[74:75], v[70:71], s[18:19], v[6:7]
	v_fma_f64 v[6:7], v[70:71], s[40:41], v[6:7]
	;; [unrolled: 1-line block ×12, first 2 shown]
	v_add_f64 v[70:71], v[66:67], -v[16:17]
	v_add_f64 v[118:119], v[2:3], v[74:75]
	v_add_f64 v[74:75], v[64:65], -v[26:27]
	v_add_f64 v[145:146], v[2:3], v[76:77]
	v_add_f64 v[149:150], v[2:3], v[8:9]
	;; [unrolled: 1-line block ×6, first 2 shown]
	v_mul_f64 v[84:85], v[70:71], s[38:39]
	v_mul_f64 v[72:73], v[70:71], s[40:41]
	;; [unrolled: 1-line block ×6, first 2 shown]
	v_fma_f64 v[102:103], v[90:91], s[0:1], v[84:85]
	v_fma_f64 v[84:85], v[90:91], s[0:1], -v[84:85]
	v_fma_f64 v[92:93], v[90:91], s[6:7], v[72:73]
	v_fma_f64 v[98:99], v[90:91], s[6:7], -v[72:73]
	;; [unrolled: 2-line block ×6, first 2 shown]
	v_add_f64 v[70:71], v[2:3], v[66:67]
	v_add_f64 v[72:73], v[0:1], v[68:69]
	;; [unrolled: 1-line block ×4, first 2 shown]
	v_add_f64 v[96:97], v[30:31], -v[24:25]
	v_add_f64 v[86:87], v[0:1], v[102:103]
	v_add_f64 v[90:91], v[0:1], v[84:85]
	;; [unrolled: 1-line block ×16, first 2 shown]
	v_add_f64 v[102:103], v[34:35], -v[28:29]
	v_mul_f64 v[10:11], v[122:123], s[4:5]
	v_add_f64 v[100:101], v[2:3], v[12:13]
	v_mul_f64 v[8:9], v[96:97], s[42:43]
	v_add_f64 v[104:105], v[34:35], v[28:29]
	v_add_f64 v[106:107], v[60:61], -v[20:21]
	v_add_f64 v[30:31], v[70:71], v[30:31]
	v_add_f64 v[64:65], v[72:73], v[64:65]
	v_mul_f64 v[4:5], v[94:95], s[28:29]
	v_fma_f64 v[12:13], v[102:103], s[16:17], v[10:11]
	v_fma_f64 v[2:3], v[76:77], s[28:29], v[8:9]
	v_add_f64 v[22:23], v[30:31], v[22:23]
	v_add_f64 v[30:31], v[64:65], v[34:35]
	v_fma_f64 v[0:1], v[74:75], s[30:31], v[4:5]
	v_fma_f64 v[4:5], v[74:75], s[42:43], v[4:5]
	v_add_f64 v[2:3], v[2:3], v[120:121]
	v_add_f64 v[120:121], v[44:45], v[48:49]
	;; [unrolled: 1-line block ×6, first 2 shown]
	v_fma_f64 v[6:7], v[76:77], s[28:29], -v[8:9]
	v_fma_f64 v[8:9], v[102:103], s[34:35], v[10:11]
	v_fma_f64 v[10:11], v[120:121], s[8:9], -v[163:164]
	v_add_f64 v[22:23], v[22:23], v[50:51]
	v_add_f64 v[30:31], v[30:31], v[36:37]
	;; [unrolled: 1-line block ×3, first 2 shown]
	v_mul_f64 v[12:13], v[124:125], s[34:35]
	v_add_f64 v[6:7], v[6:7], v[142:143]
	v_add_f64 v[4:5], v[8:9], v[4:5]
	v_mul_f64 v[142:143], v[122:123], s[20:21]
	v_add_f64 v[22:23], v[22:23], v[58:59]
	v_add_f64 v[30:31], v[30:31], v[44:45]
	v_fma_f64 v[14:15], v[104:105], s[4:5], v[12:13]
	v_fma_f64 v[8:9], v[104:105], s[4:5], -v[12:13]
	v_mul_f64 v[12:13], v[94:95], s[8:9]
	v_add_f64 v[22:23], v[22:23], v[46:47]
	v_add_f64 v[30:31], v[30:31], v[48:49]
	;; [unrolled: 1-line block ×3, first 2 shown]
	v_mul_f64 v[14:15], v[126:127], s[20:21]
	v_add_f64 v[6:7], v[8:9], v[6:7]
	v_add_f64 v[22:23], v[22:23], v[38:39]
	;; [unrolled: 1-line block ×3, first 2 shown]
	v_fma_f64 v[108:109], v[106:107], s[36:37], v[14:15]
	v_fma_f64 v[8:9], v[106:107], s[24:25], v[14:15]
	v_mul_f64 v[14:15], v[96:97], s[22:23]
	v_add_f64 v[22:23], v[22:23], v[32:33]
	v_add_f64 v[0:1], v[108:109], v[0:1]
	;; [unrolled: 1-line block ×6, first 2 shown]
	v_fma_f64 v[114:115], v[108:109], s[20:21], v[153:154]
	v_fma_f64 v[8:9], v[108:109], s[20:21], -v[153:154]
	v_add_f64 v[20:21], v[20:21], v[28:29]
	v_add_f64 v[22:23], v[22:23], v[24:25]
	;; [unrolled: 1-line block ×3, first 2 shown]
	v_add_f64 v[114:115], v[36:37], -v[40:41]
	v_add_f64 v[6:7], v[8:9], v[6:7]
	v_add_f64 v[24:25], v[20:21], v[26:27]
	;; [unrolled: 1-line block ×3, first 2 shown]
	v_fma_f64 v[116:117], v[114:115], s[14:15], v[155:156]
	v_fma_f64 v[8:9], v[114:115], s[38:39], v[155:156]
	v_add_f64 v[18:19], v[24:25], v[18:19]
	v_add_f64 v[0:1], v[116:117], v[0:1]
	;; [unrolled: 1-line block ×4, first 2 shown]
	v_fma_f64 v[118:119], v[116:117], s[0:1], v[157:158]
	v_fma_f64 v[8:9], v[116:117], s[0:1], -v[157:158]
	v_add_f64 v[159:160], v[118:119], v[2:3]
	v_add_f64 v[118:119], v[44:45], -v[48:49]
	v_add_f64 v[8:9], v[8:9], v[6:7]
	v_fma_f64 v[6:7], v[118:119], s[22:23], v[161:162]
	v_fma_f64 v[2:3], v[118:119], s[26:27], v[161:162]
	v_mul_f64 v[161:162], v[134:135], s[0:1]
	v_add_f64 v[6:7], v[6:7], v[4:5]
	v_add_f64 v[4:5], v[10:11], v[8:9]
	v_fma_f64 v[8:9], v[74:75], s[26:27], v[12:13]
	v_fma_f64 v[10:11], v[76:77], s[8:9], v[14:15]
	v_fma_f64 v[12:13], v[74:75], s[22:23], v[12:13]
	v_fma_f64 v[14:15], v[76:77], s[8:9], -v[14:15]
	v_add_f64 v[2:3], v[2:3], v[0:1]
	v_fma_f64 v[0:1], v[120:121], s[8:9], v[163:164]
	v_mul_f64 v[163:164], v[136:137], s[38:39]
	v_add_f64 v[8:9], v[8:9], v[145:146]
	v_fma_f64 v[145:146], v[102:103], s[24:25], v[142:143]
	v_add_f64 v[10:11], v[10:11], v[147:148]
	v_add_f64 v[12:13], v[12:13], v[149:150]
	v_fma_f64 v[142:143], v[102:103], s[36:37], v[142:143]
	v_add_f64 v[14:15], v[14:15], v[151:152]
	v_add_f64 v[0:1], v[0:1], v[159:160]
	;; [unrolled: 1-line block ×3, first 2 shown]
	v_mul_f64 v[145:146], v[124:125], s[36:37]
	v_add_f64 v[12:13], v[142:143], v[12:13]
	v_fma_f64 v[147:148], v[104:105], s[20:21], v[145:146]
	v_fma_f64 v[142:143], v[104:105], s[20:21], -v[145:146]
	v_fma_f64 v[145:146], v[120:121], s[0:1], -v[163:164]
	v_add_f64 v[10:11], v[147:148], v[10:11]
	v_mul_f64 v[147:148], v[126:127], s[6:7]
	v_add_f64 v[14:15], v[142:143], v[14:15]
	v_fma_f64 v[153:154], v[106:107], s[40:41], v[147:148]
	v_fma_f64 v[142:143], v[106:107], s[18:19], v[147:148]
	v_add_f64 v[8:9], v[153:154], v[8:9]
	v_mul_f64 v[153:154], v[128:129], s[18:19]
	v_add_f64 v[12:13], v[142:143], v[12:13]
	v_fma_f64 v[155:156], v[108:109], s[6:7], v[153:154]
	v_fma_f64 v[142:143], v[108:109], s[6:7], -v[153:154]
	v_add_f64 v[10:11], v[155:156], v[10:11]
	v_mul_f64 v[155:156], v[130:131], s[28:29]
	v_add_f64 v[14:15], v[142:143], v[14:15]
	v_fma_f64 v[157:158], v[114:115], s[30:31], v[155:156]
	v_fma_f64 v[142:143], v[114:115], s[42:43], v[155:156]
	v_add_f64 v[8:9], v[157:158], v[8:9]
	v_mul_f64 v[157:158], v[132:133], s[42:43]
	v_add_f64 v[12:13], v[142:143], v[12:13]
	v_fma_f64 v[142:143], v[116:117], s[28:29], -v[157:158]
	v_fma_f64 v[159:160], v[116:117], s[28:29], v[157:158]
	v_add_f64 v[142:143], v[142:143], v[14:15]
	v_fma_f64 v[14:15], v[118:119], s[38:39], v[161:162]
	v_add_f64 v[159:160], v[159:160], v[10:11]
	;; [unrolled: 2-line block ×3, first 2 shown]
	v_add_f64 v[12:13], v[145:146], v[142:143]
	v_mul_f64 v[142:143], v[94:95], s[20:21]
	v_add_f64 v[10:11], v[10:11], v[8:9]
	v_fma_f64 v[8:9], v[120:121], s[0:1], v[163:164]
	v_fma_f64 v[145:146], v[74:75], s[36:37], v[142:143]
	;; [unrolled: 1-line block ×3, first 2 shown]
	v_add_f64 v[8:9], v[8:9], v[159:160]
	v_add_f64 v[140:141], v[145:146], v[140:141]
	v_mul_f64 v[145:146], v[96:97], s[36:37]
	v_add_f64 v[16:17], v[16:17], v[66:67]
	v_fma_f64 v[147:148], v[76:77], s[20:21], -v[145:146]
	v_fma_f64 v[22:23], v[76:77], s[20:21], v[145:146]
	v_add_f64 v[138:139], v[147:148], v[138:139]
	v_mul_f64 v[147:148], v[122:123], s[8:9]
	v_add_f64 v[22:23], v[22:23], v[68:69]
	v_fma_f64 v[149:150], v[102:103], s[26:27], v[147:148]
	v_fma_f64 v[24:25], v[102:103], s[22:23], v[147:148]
	v_add_f64 v[140:141], v[149:150], v[140:141]
	v_mul_f64 v[149:150], v[124:125], s[26:27]
	v_add_f64 v[16:17], v[24:25], v[16:17]
	v_fma_f64 v[151:152], v[104:105], s[8:9], -v[149:150]
	v_fma_f64 v[26:27], v[104:105], s[8:9], v[149:150]
	v_add_f64 v[138:139], v[151:152], v[138:139]
	v_mul_f64 v[151:152], v[126:127], s[0:1]
	v_add_f64 v[22:23], v[26:27], v[22:23]
	v_fma_f64 v[153:154], v[106:107], s[38:39], v[151:152]
	v_fma_f64 v[28:29], v[106:107], s[14:15], v[151:152]
	;; [unrolled: 10-line block ×4, first 2 shown]
	v_add_f64 v[140:141], v[161:162], v[140:141]
	v_mul_f64 v[161:162], v[136:137], s[40:41]
	v_add_f64 v[24:25], v[28:29], v[16:17]
	v_fma_f64 v[163:164], v[120:121], s[6:7], -v[161:162]
	v_fma_f64 v[30:31], v[120:121], s[6:7], v[161:162]
	v_add_f64 v[138:139], v[163:164], v[138:139]
	v_mul_f64 v[163:164], v[94:95], s[0:1]
	v_add_f64 v[22:23], v[30:31], v[22:23]
	v_fma_f64 v[165:166], v[74:75], s[38:39], v[163:164]
	v_add_f64 v[112:113], v[165:166], v[112:113]
	v_mul_f64 v[165:166], v[96:97], s[38:39]
	v_fma_f64 v[167:168], v[76:77], s[0:1], -v[165:166]
	v_add_f64 v[110:111], v[167:168], v[110:111]
	v_mul_f64 v[167:168], v[122:123], s[6:7]
	v_fma_f64 v[169:170], v[102:103], s[40:41], v[167:168]
	v_add_f64 v[112:113], v[169:170], v[112:113]
	v_mul_f64 v[169:170], v[124:125], s[40:41]
	v_fma_f64 v[171:172], v[104:105], s[6:7], -v[169:170]
	v_add_f64 v[110:111], v[171:172], v[110:111]
	v_mul_f64 v[171:172], v[126:127], s[4:5]
	;; [unrolled: 6-line block ×5, first 2 shown]
	v_mul_f64 v[94:95], v[94:95], s[4:5]
	v_fma_f64 v[185:186], v[74:75], s[40:41], v[183:184]
	v_add_f64 v[100:101], v[185:186], v[100:101]
	v_mul_f64 v[185:186], v[96:97], s[40:41]
	v_mul_f64 v[96:97], v[96:97], s[16:17]
	v_fma_f64 v[187:188], v[76:77], s[6:7], -v[185:186]
	v_add_f64 v[98:99], v[187:188], v[98:99]
	v_mul_f64 v[187:188], v[122:123], s[0:1]
	v_mul_f64 v[122:123], v[122:123], s[28:29]
	v_fma_f64 v[189:190], v[102:103], s[14:15], v[187:188]
	v_add_f64 v[100:101], v[189:190], v[100:101]
	v_mul_f64 v[189:190], v[124:125], s[14:15]
	v_mul_f64 v[124:125], v[124:125], s[42:43]
	v_fma_f64 v[191:192], v[104:105], s[0:1], -v[189:190]
	v_add_f64 v[98:99], v[191:192], v[98:99]
	v_mul_f64 v[191:192], v[126:127], s[28:29]
	;; [unrolled: 8-line block ×4, first 2 shown]
	v_mul_f64 v[134:135], v[134:135], s[20:21]
	v_fma_f64 v[201:202], v[118:119], s[34:35], v[199:200]
	v_add_f64 v[100:101], v[201:202], v[100:101]
	v_mul_f64 v[201:202], v[136:137], s[34:35]
	v_mul_f64 v[136:137], v[136:137], s[24:25]
	v_fma_f64 v[203:204], v[120:121], s[4:5], -v[201:202]
	v_add_f64 v[98:99], v[203:204], v[98:99]
	v_fma_f64 v[203:204], v[74:75], s[16:17], v[94:95]
	v_fma_f64 v[94:95], v[74:75], s[34:35], v[94:95]
	v_add_f64 v[92:93], v[203:204], v[92:93]
	v_add_f64 v[88:89], v[94:95], v[88:89]
	v_fma_f64 v[94:95], v[76:77], s[4:5], v[96:97]
	v_fma_f64 v[203:204], v[76:77], s[4:5], -v[96:97]
	v_fma_f64 v[96:97], v[120:121], s[20:21], v[136:137]
	v_add_f64 v[86:87], v[94:95], v[86:87]
	v_fma_f64 v[94:95], v[102:103], s[30:31], v[122:123]
	v_add_f64 v[90:91], v[203:204], v[90:91]
	;; [unrolled: 2-line block ×4, first 2 shown]
	v_fma_f64 v[203:204], v[104:105], s[28:29], -v[124:125]
	v_add_f64 v[86:87], v[94:95], v[86:87]
	v_fma_f64 v[94:95], v[106:107], s[22:23], v[126:127]
	v_add_f64 v[90:91], v[203:204], v[90:91]
	v_fma_f64 v[203:204], v[106:107], s[26:27], v[126:127]
	;; [unrolled: 2-line block ×3, first 2 shown]
	v_add_f64 v[92:93], v[203:204], v[92:93]
	v_fma_f64 v[203:204], v[108:109], s[8:9], -v[128:129]
	v_add_f64 v[86:87], v[94:95], v[86:87]
	v_fma_f64 v[94:95], v[114:115], s[40:41], v[130:131]
	v_add_f64 v[90:91], v[203:204], v[90:91]
	v_fma_f64 v[203:204], v[114:115], s[18:19], v[130:131]
	;; [unrolled: 2-line block ×3, first 2 shown]
	v_add_f64 v[92:93], v[203:204], v[92:93]
	v_fma_f64 v[203:204], v[116:117], s[6:7], -v[132:133]
	v_add_f64 v[86:87], v[94:95], v[86:87]
	v_fma_f64 v[94:95], v[118:119], s[36:37], v[134:135]
	v_add_f64 v[90:91], v[203:204], v[90:91]
	v_fma_f64 v[203:204], v[118:119], s[24:25], v[134:135]
	v_add_f64 v[86:87], v[96:97], v[86:87]
	v_add_f64 v[88:89], v[94:95], v[88:89]
	v_fma_f64 v[94:95], v[74:75], s[18:19], v[183:184]
	v_fma_f64 v[96:97], v[120:121], s[4:5], v[201:202]
	v_add_f64 v[92:93], v[203:204], v[92:93]
	v_fma_f64 v[203:204], v[120:121], s[20:21], -v[136:137]
	v_add_f64 v[84:85], v[94:95], v[84:85]
	v_fma_f64 v[94:95], v[76:77], s[6:7], v[185:186]
	v_add_f64 v[90:91], v[203:204], v[90:91]
	v_add_f64 v[82:83], v[94:95], v[82:83]
	v_fma_f64 v[94:95], v[102:103], s[38:39], v[187:188]
	v_add_f64 v[84:85], v[94:95], v[84:85]
	v_fma_f64 v[94:95], v[104:105], s[0:1], v[189:190]
	;; [unrolled: 2-line block ×7, first 2 shown]
	v_add_f64 v[82:83], v[96:97], v[82:83]
	v_add_f64 v[84:85], v[94:95], v[84:85]
	v_fma_f64 v[94:95], v[74:75], s[14:15], v[163:164]
	v_fma_f64 v[96:97], v[120:121], s[28:29], v[181:182]
	v_add_f64 v[80:81], v[94:95], v[80:81]
	v_fma_f64 v[94:95], v[76:77], s[0:1], v[165:166]
	v_add_f64 v[78:79], v[94:95], v[78:79]
	;; [unrolled: 2-line block ×9, first 2 shown]
	v_add_f64 v[80:81], v[94:95], v[80:81]
	ds_write_b128 v144, v[138:141] offset:1600
	ds_write_b128 v144, v[110:113] offset:3200
	;; [unrolled: 1-line block ×11, first 2 shown]
	ds_write_b128 v144, v[18:21]
	ds_write_b128 v144, v[22:25] offset:19200
.LBB0_17:
	s_or_b32 exec_lo, exec_lo, s33
	s_waitcnt lgkmcnt(0)
	s_barrier
	buffer_gl0_inv
	ds_read_b128 v[4:7], v144
	v_lshlrev_b32_e32 v0, 4, v54
	s_add_u32 s1, s12, 0x50a0
	s_addc_u32 s4, s13, 0
	s_mov_b32 s5, exec_lo
                                        ; implicit-def: $vgpr8_vgpr9
                                        ; implicit-def: $vgpr10_vgpr11
	v_sub_nc_u32_e32 v12, 0, v0
                                        ; implicit-def: $vgpr0_vgpr1
	v_cmpx_ne_u32_e32 0, v54
	s_xor_b32 s5, exec_lo, s5
	s_cbranch_execz .LBB0_19
; %bb.18:
	v_mov_b32_e32 v55, 0
	v_lshlrev_b64 v[0:1], 4, v[54:55]
	v_add_co_u32 v0, s0, s1, v0
	v_add_co_ci_u32_e64 v1, s0, s4, v1, s0
	global_load_dwordx4 v[13:16], v[0:1], off
	ds_read_b128 v[0:3], v12 offset:20800
	s_waitcnt lgkmcnt(0)
	v_add_f64 v[8:9], v[4:5], -v[0:1]
	v_add_f64 v[10:11], v[6:7], v[2:3]
	v_add_f64 v[2:3], v[6:7], -v[2:3]
	v_add_f64 v[0:1], v[4:5], v[0:1]
	v_mul_f64 v[6:7], v[8:9], 0.5
	v_mul_f64 v[4:5], v[10:11], 0.5
	;; [unrolled: 1-line block ×3, first 2 shown]
	s_waitcnt vmcnt(0)
	v_mul_f64 v[8:9], v[6:7], v[15:16]
	v_fma_f64 v[10:11], v[4:5], v[15:16], v[2:3]
	v_fma_f64 v[2:3], v[4:5], v[15:16], -v[2:3]
	v_fma_f64 v[17:18], v[0:1], 0.5, v[8:9]
	v_fma_f64 v[0:1], v[0:1], 0.5, -v[8:9]
	v_fma_f64 v[10:11], -v[13:14], v[6:7], v[10:11]
	v_fma_f64 v[2:3], -v[13:14], v[6:7], v[2:3]
	v_fma_f64 v[8:9], v[4:5], v[13:14], v[17:18]
	v_fma_f64 v[0:1], -v[4:5], v[13:14], v[0:1]
                                        ; implicit-def: $vgpr4_vgpr5
.LBB0_19:
	s_andn2_saveexec_b32 s0, s5
	s_cbranch_execz .LBB0_21
; %bb.20:
	v_mov_b32_e32 v15, 0
	s_waitcnt lgkmcnt(0)
	v_add_f64 v[8:9], v[4:5], v[6:7]
	v_add_f64 v[0:1], v[4:5], -v[6:7]
	v_mov_b32_e32 v10, 0
	v_mov_b32_e32 v11, 0
	ds_read_b64 v[13:14], v15 offset:10408
	v_mov_b32_e32 v2, v10
	v_mov_b32_e32 v3, v11
	s_waitcnt lgkmcnt(0)
	v_xor_b32_e32 v14, 0x80000000, v14
	ds_write_b64 v15, v[13:14] offset:10408
.LBB0_21:
	s_or_b32 exec_lo, exec_lo, s0
	s_waitcnt lgkmcnt(0)
	v_add_nc_u32_e32 v4, 0x82, v54
	v_mov_b32_e32 v5, 0
	ds_write2_b64 v144, v[8:9], v[10:11] offset1:1
	ds_write_b128 v12, v[0:3] offset:20800
	v_lshlrev_b64 v[6:7], 4, v[4:5]
	v_add_nc_u32_e32 v4, 0x104, v54
	v_add_co_u32 v6, s0, s1, v6
	v_add_co_ci_u32_e64 v7, s0, s4, v7, s0
	global_load_dwordx4 v[13:16], v[6:7], off
	v_lshlrev_b64 v[6:7], 4, v[4:5]
	v_add_nc_u32_e32 v4, 0x186, v54
	v_lshlrev_b64 v[10:11], 4, v[4:5]
	v_add_co_u32 v6, s0, s1, v6
	v_add_co_ci_u32_e64 v7, s0, s4, v7, s0
	v_add_nc_u32_e32 v4, 0x208, v54
	v_add_co_u32 v10, s0, s1, v10
	global_load_dwordx4 v[17:20], v[6:7], off
	ds_read_b128 v[0:3], v144 offset:2080
	ds_read_b128 v[6:9], v12 offset:18720
	v_add_co_ci_u32_e64 v11, s0, s4, v11, s0
	global_load_dwordx4 v[21:24], v[10:11], off
	s_waitcnt lgkmcnt(0)
	v_add_f64 v[10:11], v[0:1], -v[6:7]
	v_add_f64 v[25:26], v[2:3], v[8:9]
	v_add_f64 v[2:3], v[2:3], -v[8:9]
	v_add_f64 v[0:1], v[0:1], v[6:7]
	v_mul_f64 v[8:9], v[10:11], 0.5
	v_mul_f64 v[10:11], v[25:26], 0.5
	;; [unrolled: 1-line block ×3, first 2 shown]
	s_waitcnt vmcnt(2)
	v_mul_f64 v[6:7], v[8:9], v[15:16]
	v_fma_f64 v[25:26], v[10:11], v[15:16], v[2:3]
	v_fma_f64 v[2:3], v[10:11], v[15:16], -v[2:3]
	v_fma_f64 v[15:16], v[0:1], 0.5, v[6:7]
	v_fma_f64 v[0:1], v[0:1], 0.5, -v[6:7]
	v_fma_f64 v[6:7], -v[13:14], v[8:9], v[25:26]
	v_fma_f64 v[2:3], -v[13:14], v[8:9], v[2:3]
	v_fma_f64 v[8:9], v[10:11], v[13:14], v[15:16]
	v_fma_f64 v[0:1], -v[10:11], v[13:14], v[0:1]
	v_lshlrev_b64 v[10:11], 4, v[4:5]
	v_add_nc_u32_e32 v13, 0x800, v144
	v_add_nc_u32_e32 v4, 0x1000, v144
	ds_write2_b64 v13, v[8:9], v[6:7] offset0:4 offset1:5
	ds_write_b128 v12, v[0:3] offset:18720
	v_add_co_u32 v10, s0, s1, v10
	ds_read_b128 v[0:3], v144 offset:4160
	ds_read_b128 v[6:9], v12 offset:16640
	v_add_co_ci_u32_e64 v11, s0, s4, v11, s0
	global_load_dwordx4 v[13:16], v[10:11], off
	s_waitcnt lgkmcnt(0)
	v_add_f64 v[10:11], v[0:1], -v[6:7]
	v_add_f64 v[25:26], v[2:3], v[8:9]
	v_add_f64 v[2:3], v[2:3], -v[8:9]
	v_add_f64 v[0:1], v[0:1], v[6:7]
	v_mul_f64 v[8:9], v[10:11], 0.5
	v_mul_f64 v[10:11], v[25:26], 0.5
	;; [unrolled: 1-line block ×3, first 2 shown]
	s_waitcnt vmcnt(2)
	v_mul_f64 v[6:7], v[8:9], v[19:20]
	v_fma_f64 v[25:26], v[10:11], v[19:20], v[2:3]
	v_fma_f64 v[2:3], v[10:11], v[19:20], -v[2:3]
	v_fma_f64 v[19:20], v[0:1], 0.5, v[6:7]
	v_fma_f64 v[0:1], v[0:1], 0.5, -v[6:7]
	v_fma_f64 v[6:7], -v[17:18], v[8:9], v[25:26]
	v_fma_f64 v[2:3], -v[17:18], v[8:9], v[2:3]
	v_fma_f64 v[8:9], v[10:11], v[17:18], v[19:20]
	v_fma_f64 v[0:1], -v[10:11], v[17:18], v[0:1]
	ds_write2_b64 v4, v[8:9], v[6:7] offset0:8 offset1:9
	ds_write_b128 v12, v[0:3] offset:16640
	ds_read_b128 v[0:3], v144 offset:6240
	ds_read_b128 v[6:9], v12 offset:14560
	v_add_nc_u32_e32 v4, 0x1800, v144
	s_waitcnt lgkmcnt(0)
	v_add_f64 v[10:11], v[0:1], -v[6:7]
	v_add_f64 v[17:18], v[2:3], v[8:9]
	v_add_f64 v[2:3], v[2:3], -v[8:9]
	v_add_f64 v[0:1], v[0:1], v[6:7]
	v_mul_f64 v[8:9], v[10:11], 0.5
	v_mul_f64 v[10:11], v[17:18], 0.5
	;; [unrolled: 1-line block ×3, first 2 shown]
	s_waitcnt vmcnt(1)
	v_mul_f64 v[6:7], v[8:9], v[23:24]
	v_fma_f64 v[17:18], v[10:11], v[23:24], v[2:3]
	v_fma_f64 v[2:3], v[10:11], v[23:24], -v[2:3]
	v_fma_f64 v[19:20], v[0:1], 0.5, v[6:7]
	v_fma_f64 v[0:1], v[0:1], 0.5, -v[6:7]
	v_fma_f64 v[6:7], -v[21:22], v[8:9], v[17:18]
	v_fma_f64 v[2:3], -v[21:22], v[8:9], v[2:3]
	v_fma_f64 v[8:9], v[10:11], v[21:22], v[19:20]
	v_fma_f64 v[0:1], -v[10:11], v[21:22], v[0:1]
	ds_write2_b64 v4, v[8:9], v[6:7] offset0:12 offset1:13
	ds_write_b128 v12, v[0:3] offset:14560
	ds_read_b128 v[0:3], v144 offset:8320
	ds_read_b128 v[6:9], v12 offset:12480
	v_add_nc_u32_e32 v4, 0x2000, v144
	s_waitcnt lgkmcnt(0)
	v_add_f64 v[10:11], v[0:1], -v[6:7]
	v_add_f64 v[17:18], v[2:3], v[8:9]
	v_add_f64 v[2:3], v[2:3], -v[8:9]
	v_add_f64 v[0:1], v[0:1], v[6:7]
	v_mul_f64 v[8:9], v[10:11], 0.5
	v_mul_f64 v[10:11], v[17:18], 0.5
	;; [unrolled: 1-line block ×3, first 2 shown]
	s_waitcnt vmcnt(0)
	v_mul_f64 v[6:7], v[8:9], v[15:16]
	v_fma_f64 v[17:18], v[10:11], v[15:16], v[2:3]
	v_fma_f64 v[2:3], v[10:11], v[15:16], -v[2:3]
	v_fma_f64 v[15:16], v[0:1], 0.5, v[6:7]
	v_fma_f64 v[0:1], v[0:1], 0.5, -v[6:7]
	v_fma_f64 v[6:7], -v[13:14], v[8:9], v[17:18]
	v_fma_f64 v[2:3], -v[13:14], v[8:9], v[2:3]
	v_fma_f64 v[8:9], v[10:11], v[13:14], v[15:16]
	v_fma_f64 v[0:1], -v[10:11], v[13:14], v[0:1]
	ds_write2_b64 v4, v[8:9], v[6:7] offset0:16 offset1:17
	ds_write_b128 v12, v[0:3] offset:12480
	s_waitcnt lgkmcnt(0)
	s_barrier
	buffer_gl0_inv
	s_and_saveexec_b32 s0, vcc_lo
	s_cbranch_execz .LBB0_24
; %bb.22:
	v_mul_lo_u32 v2, s3, v56
	v_mul_lo_u32 v3, s2, v57
	v_mad_u64_u32 v[0:1], null, s2, v56, 0
	v_lshl_add_u32 v28, v54, 4, 0
	v_mov_b32_e32 v55, v5
	ds_read_b128 v[6:9], v28
	ds_read_b128 v[10:13], v28 offset:2080
	v_add3_u32 v1, v1, v3, v2
	v_lshlrev_b64 v[2:3], 4, v[52:53]
	v_add_nc_u32_e32 v4, 0x82, v54
	v_lshlrev_b64 v[14:15], 4, v[54:55]
	v_lshlrev_b64 v[0:1], 4, v[0:1]
	v_lshlrev_b64 v[16:17], 4, v[4:5]
	v_add_nc_u32_e32 v4, 0x104, v54
	v_add_co_u32 v0, vcc_lo, s10, v0
	v_add_co_ci_u32_e32 v1, vcc_lo, s11, v1, vcc_lo
	v_add_co_u32 v0, vcc_lo, v0, v2
	v_add_co_ci_u32_e32 v1, vcc_lo, v1, v3, vcc_lo
	;; [unrolled: 2-line block ×4, first 2 shown]
	v_lshlrev_b64 v[16:17], 4, v[4:5]
	v_add_nc_u32_e32 v4, 0x186, v54
	s_waitcnt lgkmcnt(1)
	global_store_dwordx4 v[2:3], v[6:9], off
	s_waitcnt lgkmcnt(0)
	global_store_dwordx4 v[14:15], v[10:13], off
	ds_read_b128 v[6:9], v28 offset:4160
	ds_read_b128 v[10:13], v28 offset:6240
	v_lshlrev_b64 v[2:3], 4, v[4:5]
	v_add_nc_u32_e32 v4, 0x208, v54
	v_add_co_u32 v22, vcc_lo, v0, v16
	v_add_co_ci_u32_e32 v23, vcc_lo, v1, v17, vcc_lo
	ds_read_b128 v[14:17], v28 offset:8320
	ds_read_b128 v[18:21], v28 offset:10400
	v_lshlrev_b64 v[24:25], 4, v[4:5]
	v_add_nc_u32_e32 v4, 0x28a, v54
	v_add_co_u32 v2, vcc_lo, v0, v2
	v_add_co_ci_u32_e32 v3, vcc_lo, v1, v3, vcc_lo
	v_lshlrev_b64 v[26:27], 4, v[4:5]
	v_add_nc_u32_e32 v4, 0x30c, v54
	v_add_co_u32 v24, vcc_lo, v0, v24
	s_waitcnt lgkmcnt(3)
	global_store_dwordx4 v[22:23], v[6:9], off
	v_add_co_ci_u32_e32 v25, vcc_lo, v1, v25, vcc_lo
	v_lshlrev_b64 v[6:7], 4, v[4:5]
	v_add_nc_u32_e32 v4, 0x38e, v54
	v_add_co_u32 v26, vcc_lo, v0, v26
	v_add_co_ci_u32_e32 v27, vcc_lo, v1, v27, vcc_lo
	v_lshlrev_b64 v[22:23], 4, v[4:5]
	v_add_nc_u32_e32 v4, 0x410, v54
	s_waitcnt lgkmcnt(2)
	global_store_dwordx4 v[2:3], v[10:13], off
	s_waitcnt lgkmcnt(1)
	global_store_dwordx4 v[24:25], v[14:17], off
	;; [unrolled: 2-line block ×3, first 2 shown]
	v_add_co_u32 v2, vcc_lo, v0, v6
	v_add_co_ci_u32_e32 v3, vcc_lo, v1, v7, vcc_lo
	ds_read_b128 v[6:9], v28 offset:12480
	ds_read_b128 v[10:13], v28 offset:14560
	;; [unrolled: 1-line block ×4, first 2 shown]
	v_lshlrev_b64 v[24:25], 4, v[4:5]
	v_add_nc_u32_e32 v4, 0x492, v54
	v_add_co_u32 v22, vcc_lo, v0, v22
	v_add_co_ci_u32_e32 v23, vcc_lo, v1, v23, vcc_lo
	v_lshlrev_b64 v[4:5], 4, v[4:5]
	v_add_co_u32 v24, vcc_lo, v0, v24
	v_add_co_ci_u32_e32 v25, vcc_lo, v1, v25, vcc_lo
	v_add_co_u32 v4, vcc_lo, v0, v4
	v_add_co_ci_u32_e32 v5, vcc_lo, v1, v5, vcc_lo
	v_cmp_eq_u32_e32 vcc_lo, 0x81, v54
	s_waitcnt lgkmcnt(3)
	global_store_dwordx4 v[2:3], v[6:9], off
	s_waitcnt lgkmcnt(2)
	global_store_dwordx4 v[22:23], v[10:13], off
	s_waitcnt lgkmcnt(1)
	global_store_dwordx4 v[24:25], v[14:17], off
	s_waitcnt lgkmcnt(0)
	global_store_dwordx4 v[4:5], v[18:21], off
	s_and_b32 exec_lo, exec_lo, vcc_lo
	s_cbranch_execz .LBB0_24
; %bb.23:
	v_mov_b32_e32 v2, 0
	v_add_co_u32 v0, vcc_lo, 0x5000, v0
	v_add_co_ci_u32_e32 v1, vcc_lo, 0, v1, vcc_lo
	ds_read_b128 v[2:5], v2 offset:20800
	s_waitcnt lgkmcnt(0)
	global_store_dwordx4 v[0:1], v[2:5], off offset:320
.LBB0_24:
	s_endpgm
	.section	.rodata,"a",@progbits
	.p2align	6, 0x0
	.amdhsa_kernel fft_rtc_fwd_len1300_factors_10_10_13_wgs_130_tpt_130_dp_op_CI_CI_unitstride_sbrr_R2C_dirReg
		.amdhsa_group_segment_fixed_size 0
		.amdhsa_private_segment_fixed_size 0
		.amdhsa_kernarg_size 104
		.amdhsa_user_sgpr_count 6
		.amdhsa_user_sgpr_private_segment_buffer 1
		.amdhsa_user_sgpr_dispatch_ptr 0
		.amdhsa_user_sgpr_queue_ptr 0
		.amdhsa_user_sgpr_kernarg_segment_ptr 1
		.amdhsa_user_sgpr_dispatch_id 0
		.amdhsa_user_sgpr_flat_scratch_init 0
		.amdhsa_user_sgpr_private_segment_size 0
		.amdhsa_wavefront_size32 1
		.amdhsa_uses_dynamic_stack 0
		.amdhsa_system_sgpr_private_segment_wavefront_offset 0
		.amdhsa_system_sgpr_workgroup_id_x 1
		.amdhsa_system_sgpr_workgroup_id_y 0
		.amdhsa_system_sgpr_workgroup_id_z 0
		.amdhsa_system_sgpr_workgroup_info 0
		.amdhsa_system_vgpr_workitem_id 0
		.amdhsa_next_free_vgpr 205
		.amdhsa_next_free_sgpr 44
		.amdhsa_reserve_vcc 1
		.amdhsa_reserve_flat_scratch 0
		.amdhsa_float_round_mode_32 0
		.amdhsa_float_round_mode_16_64 0
		.amdhsa_float_denorm_mode_32 3
		.amdhsa_float_denorm_mode_16_64 3
		.amdhsa_dx10_clamp 1
		.amdhsa_ieee_mode 1
		.amdhsa_fp16_overflow 0
		.amdhsa_workgroup_processor_mode 1
		.amdhsa_memory_ordered 1
		.amdhsa_forward_progress 0
		.amdhsa_shared_vgpr_count 0
		.amdhsa_exception_fp_ieee_invalid_op 0
		.amdhsa_exception_fp_denorm_src 0
		.amdhsa_exception_fp_ieee_div_zero 0
		.amdhsa_exception_fp_ieee_overflow 0
		.amdhsa_exception_fp_ieee_underflow 0
		.amdhsa_exception_fp_ieee_inexact 0
		.amdhsa_exception_int_div_zero 0
	.end_amdhsa_kernel
	.text
.Lfunc_end0:
	.size	fft_rtc_fwd_len1300_factors_10_10_13_wgs_130_tpt_130_dp_op_CI_CI_unitstride_sbrr_R2C_dirReg, .Lfunc_end0-fft_rtc_fwd_len1300_factors_10_10_13_wgs_130_tpt_130_dp_op_CI_CI_unitstride_sbrr_R2C_dirReg
                                        ; -- End function
	.section	.AMDGPU.csdata,"",@progbits
; Kernel info:
; codeLenInByte = 11300
; NumSgprs: 46
; NumVgprs: 205
; ScratchSize: 0
; MemoryBound: 0
; FloatMode: 240
; IeeeMode: 1
; LDSByteSize: 0 bytes/workgroup (compile time only)
; SGPRBlocks: 5
; VGPRBlocks: 25
; NumSGPRsForWavesPerEU: 46
; NumVGPRsForWavesPerEU: 205
; Occupancy: 4
; WaveLimiterHint : 1
; COMPUTE_PGM_RSRC2:SCRATCH_EN: 0
; COMPUTE_PGM_RSRC2:USER_SGPR: 6
; COMPUTE_PGM_RSRC2:TRAP_HANDLER: 0
; COMPUTE_PGM_RSRC2:TGID_X_EN: 1
; COMPUTE_PGM_RSRC2:TGID_Y_EN: 0
; COMPUTE_PGM_RSRC2:TGID_Z_EN: 0
; COMPUTE_PGM_RSRC2:TIDIG_COMP_CNT: 0
	.text
	.p2alignl 6, 3214868480
	.fill 48, 4, 3214868480
	.type	__hip_cuid_f809f1ebb9dfba7a,@object ; @__hip_cuid_f809f1ebb9dfba7a
	.section	.bss,"aw",@nobits
	.globl	__hip_cuid_f809f1ebb9dfba7a
__hip_cuid_f809f1ebb9dfba7a:
	.byte	0                               ; 0x0
	.size	__hip_cuid_f809f1ebb9dfba7a, 1

	.ident	"AMD clang version 19.0.0git (https://github.com/RadeonOpenCompute/llvm-project roc-6.4.0 25133 c7fe45cf4b819c5991fe208aaa96edf142730f1d)"
	.section	".note.GNU-stack","",@progbits
	.addrsig
	.addrsig_sym __hip_cuid_f809f1ebb9dfba7a
	.amdgpu_metadata
---
amdhsa.kernels:
  - .args:
      - .actual_access:  read_only
        .address_space:  global
        .offset:         0
        .size:           8
        .value_kind:     global_buffer
      - .offset:         8
        .size:           8
        .value_kind:     by_value
      - .actual_access:  read_only
        .address_space:  global
        .offset:         16
        .size:           8
        .value_kind:     global_buffer
      - .actual_access:  read_only
        .address_space:  global
        .offset:         24
        .size:           8
        .value_kind:     global_buffer
      - .actual_access:  read_only
        .address_space:  global
        .offset:         32
        .size:           8
        .value_kind:     global_buffer
      - .offset:         40
        .size:           8
        .value_kind:     by_value
      - .actual_access:  read_only
        .address_space:  global
        .offset:         48
        .size:           8
        .value_kind:     global_buffer
      - .actual_access:  read_only
        .address_space:  global
        .offset:         56
        .size:           8
        .value_kind:     global_buffer
      - .offset:         64
        .size:           4
        .value_kind:     by_value
      - .actual_access:  read_only
        .address_space:  global
        .offset:         72
        .size:           8
        .value_kind:     global_buffer
      - .actual_access:  read_only
        .address_space:  global
        .offset:         80
        .size:           8
        .value_kind:     global_buffer
      - .actual_access:  read_only
        .address_space:  global
        .offset:         88
        .size:           8
        .value_kind:     global_buffer
      - .actual_access:  write_only
        .address_space:  global
        .offset:         96
        .size:           8
        .value_kind:     global_buffer
    .group_segment_fixed_size: 0
    .kernarg_segment_align: 8
    .kernarg_segment_size: 104
    .language:       OpenCL C
    .language_version:
      - 2
      - 0
    .max_flat_workgroup_size: 130
    .name:           fft_rtc_fwd_len1300_factors_10_10_13_wgs_130_tpt_130_dp_op_CI_CI_unitstride_sbrr_R2C_dirReg
    .private_segment_fixed_size: 0
    .sgpr_count:     46
    .sgpr_spill_count: 0
    .symbol:         fft_rtc_fwd_len1300_factors_10_10_13_wgs_130_tpt_130_dp_op_CI_CI_unitstride_sbrr_R2C_dirReg.kd
    .uniform_work_group_size: 1
    .uses_dynamic_stack: false
    .vgpr_count:     205
    .vgpr_spill_count: 0
    .wavefront_size: 32
    .workgroup_processor_mode: 1
amdhsa.target:   amdgcn-amd-amdhsa--gfx1030
amdhsa.version:
  - 1
  - 2
...

	.end_amdgpu_metadata
